;; amdgpu-corpus repo=ROCm/rocFFT kind=compiled arch=gfx906 opt=O3
	.text
	.amdgcn_target "amdgcn-amd-amdhsa--gfx906"
	.amdhsa_code_object_version 6
	.protected	fft_rtc_back_len675_factors_5_5_3_3_3_wgs_225_tpt_225_halfLds_dp_op_CI_CI_unitstride_sbrr_dirReg ; -- Begin function fft_rtc_back_len675_factors_5_5_3_3_3_wgs_225_tpt_225_halfLds_dp_op_CI_CI_unitstride_sbrr_dirReg
	.globl	fft_rtc_back_len675_factors_5_5_3_3_3_wgs_225_tpt_225_halfLds_dp_op_CI_CI_unitstride_sbrr_dirReg
	.p2align	8
	.type	fft_rtc_back_len675_factors_5_5_3_3_3_wgs_225_tpt_225_halfLds_dp_op_CI_CI_unitstride_sbrr_dirReg,@function
fft_rtc_back_len675_factors_5_5_3_3_3_wgs_225_tpt_225_halfLds_dp_op_CI_CI_unitstride_sbrr_dirReg: ; @fft_rtc_back_len675_factors_5_5_3_3_3_wgs_225_tpt_225_halfLds_dp_op_CI_CI_unitstride_sbrr_dirReg
; %bb.0:
	s_load_dwordx4 s[8:11], s[4:5], 0x58
	s_load_dwordx4 s[12:15], s[4:5], 0x0
	;; [unrolled: 1-line block ×3, first 2 shown]
	v_mul_u32_u24_e32 v1, 0x124, v0
	v_add_u32_sdwa v3, s6, v1 dst_sel:DWORD dst_unused:UNUSED_PAD src0_sel:DWORD src1_sel:WORD_1
	v_mov_b32_e32 v1, 0
	s_waitcnt lgkmcnt(0)
	v_cmp_lt_u64_e64 s[0:1], s[14:15], 2
	v_mov_b32_e32 v22, 0
	v_mov_b32_e32 v4, v1
	s_and_b64 vcc, exec, s[0:1]
	v_mov_b32_e32 v23, 0
	s_cbranch_vccnz .LBB0_8
; %bb.1:
	s_load_dwordx2 s[0:1], s[4:5], 0x10
	s_add_u32 s2, s18, 8
	s_addc_u32 s3, s19, 0
	s_add_u32 s6, s16, 8
	v_mov_b32_e32 v22, 0
	s_addc_u32 s7, s17, 0
	v_mov_b32_e32 v23, 0
	s_waitcnt lgkmcnt(0)
	s_add_u32 s20, s0, 8
	v_mov_b32_e32 v27, v23
	s_addc_u32 s21, s1, 0
	s_mov_b64 s[22:23], 1
	v_mov_b32_e32 v26, v22
.LBB0_2:                                ; =>This Inner Loop Header: Depth=1
	s_load_dwordx2 s[24:25], s[20:21], 0x0
                                        ; implicit-def: $vgpr28_vgpr29
	s_waitcnt lgkmcnt(0)
	v_or_b32_e32 v2, s25, v4
	v_cmp_ne_u64_e32 vcc, 0, v[1:2]
	s_and_saveexec_b64 s[0:1], vcc
	s_xor_b64 s[26:27], exec, s[0:1]
	s_cbranch_execz .LBB0_4
; %bb.3:                                ;   in Loop: Header=BB0_2 Depth=1
	v_cvt_f32_u32_e32 v2, s24
	v_cvt_f32_u32_e32 v5, s25
	s_sub_u32 s0, 0, s24
	s_subb_u32 s1, 0, s25
	v_mac_f32_e32 v2, 0x4f800000, v5
	v_rcp_f32_e32 v2, v2
	v_mul_f32_e32 v2, 0x5f7ffffc, v2
	v_mul_f32_e32 v5, 0x2f800000, v2
	v_trunc_f32_e32 v5, v5
	v_mac_f32_e32 v2, 0xcf800000, v5
	v_cvt_u32_f32_e32 v5, v5
	v_cvt_u32_f32_e32 v2, v2
	v_mul_lo_u32 v6, s0, v5
	v_mul_hi_u32 v7, s0, v2
	v_mul_lo_u32 v9, s1, v2
	v_mul_lo_u32 v8, s0, v2
	v_add_u32_e32 v6, v7, v6
	v_add_u32_e32 v6, v6, v9
	v_mul_hi_u32 v7, v2, v8
	v_mul_lo_u32 v9, v2, v6
	v_mul_hi_u32 v11, v2, v6
	v_mul_hi_u32 v10, v5, v8
	v_mul_lo_u32 v8, v5, v8
	v_mul_hi_u32 v12, v5, v6
	v_add_co_u32_e32 v7, vcc, v7, v9
	v_addc_co_u32_e32 v9, vcc, 0, v11, vcc
	v_mul_lo_u32 v6, v5, v6
	v_add_co_u32_e32 v7, vcc, v7, v8
	v_addc_co_u32_e32 v7, vcc, v9, v10, vcc
	v_addc_co_u32_e32 v8, vcc, 0, v12, vcc
	v_add_co_u32_e32 v6, vcc, v7, v6
	v_addc_co_u32_e32 v7, vcc, 0, v8, vcc
	v_add_co_u32_e32 v2, vcc, v2, v6
	v_addc_co_u32_e32 v5, vcc, v5, v7, vcc
	v_mul_lo_u32 v6, s0, v5
	v_mul_hi_u32 v7, s0, v2
	v_mul_lo_u32 v8, s1, v2
	v_mul_lo_u32 v9, s0, v2
	v_add_u32_e32 v6, v7, v6
	v_add_u32_e32 v6, v6, v8
	v_mul_lo_u32 v10, v2, v6
	v_mul_hi_u32 v11, v2, v9
	v_mul_hi_u32 v12, v2, v6
	v_mul_hi_u32 v8, v5, v9
	v_mul_lo_u32 v9, v5, v9
	v_mul_hi_u32 v7, v5, v6
	v_add_co_u32_e32 v10, vcc, v11, v10
	v_addc_co_u32_e32 v11, vcc, 0, v12, vcc
	v_mul_lo_u32 v6, v5, v6
	v_add_co_u32_e32 v9, vcc, v10, v9
	v_addc_co_u32_e32 v8, vcc, v11, v8, vcc
	v_addc_co_u32_e32 v7, vcc, 0, v7, vcc
	v_add_co_u32_e32 v6, vcc, v8, v6
	v_addc_co_u32_e32 v7, vcc, 0, v7, vcc
	v_add_co_u32_e32 v2, vcc, v2, v6
	v_addc_co_u32_e32 v7, vcc, v5, v7, vcc
	v_mad_u64_u32 v[5:6], s[0:1], v3, v7, 0
	v_mul_hi_u32 v8, v3, v2
	v_add_co_u32_e32 v9, vcc, v8, v5
	v_addc_co_u32_e32 v10, vcc, 0, v6, vcc
	v_mad_u64_u32 v[5:6], s[0:1], v4, v2, 0
	v_mad_u64_u32 v[7:8], s[0:1], v4, v7, 0
	v_add_co_u32_e32 v2, vcc, v9, v5
	v_addc_co_u32_e32 v2, vcc, v10, v6, vcc
	v_addc_co_u32_e32 v5, vcc, 0, v8, vcc
	v_add_co_u32_e32 v2, vcc, v2, v7
	v_addc_co_u32_e32 v7, vcc, 0, v5, vcc
	v_mul_lo_u32 v8, s25, v2
	v_mul_lo_u32 v9, s24, v7
	v_mad_u64_u32 v[5:6], s[0:1], s24, v2, 0
	v_add3_u32 v6, v6, v9, v8
	v_sub_u32_e32 v8, v4, v6
	v_mov_b32_e32 v9, s25
	v_sub_co_u32_e32 v5, vcc, v3, v5
	v_subb_co_u32_e64 v8, s[0:1], v8, v9, vcc
	v_subrev_co_u32_e64 v9, s[0:1], s24, v5
	v_subbrev_co_u32_e64 v8, s[0:1], 0, v8, s[0:1]
	v_cmp_le_u32_e64 s[0:1], s25, v8
	v_cndmask_b32_e64 v10, 0, -1, s[0:1]
	v_cmp_le_u32_e64 s[0:1], s24, v9
	v_cndmask_b32_e64 v9, 0, -1, s[0:1]
	v_cmp_eq_u32_e64 s[0:1], s25, v8
	v_cndmask_b32_e64 v8, v10, v9, s[0:1]
	v_add_co_u32_e64 v9, s[0:1], 2, v2
	v_addc_co_u32_e64 v10, s[0:1], 0, v7, s[0:1]
	v_add_co_u32_e64 v11, s[0:1], 1, v2
	v_addc_co_u32_e64 v12, s[0:1], 0, v7, s[0:1]
	v_subb_co_u32_e32 v6, vcc, v4, v6, vcc
	v_cmp_ne_u32_e64 s[0:1], 0, v8
	v_cmp_le_u32_e32 vcc, s25, v6
	v_cndmask_b32_e64 v8, v12, v10, s[0:1]
	v_cndmask_b32_e64 v10, 0, -1, vcc
	v_cmp_le_u32_e32 vcc, s24, v5
	v_cndmask_b32_e64 v5, 0, -1, vcc
	v_cmp_eq_u32_e32 vcc, s25, v6
	v_cndmask_b32_e32 v5, v10, v5, vcc
	v_cmp_ne_u32_e32 vcc, 0, v5
	v_cndmask_b32_e64 v5, v11, v9, s[0:1]
	v_cndmask_b32_e32 v29, v7, v8, vcc
	v_cndmask_b32_e32 v28, v2, v5, vcc
.LBB0_4:                                ;   in Loop: Header=BB0_2 Depth=1
	s_andn2_saveexec_b64 s[0:1], s[26:27]
	s_cbranch_execz .LBB0_6
; %bb.5:                                ;   in Loop: Header=BB0_2 Depth=1
	v_cvt_f32_u32_e32 v2, s24
	s_sub_i32 s26, 0, s24
	v_mov_b32_e32 v29, v1
	v_rcp_iflag_f32_e32 v2, v2
	v_mul_f32_e32 v2, 0x4f7ffffe, v2
	v_cvt_u32_f32_e32 v2, v2
	v_mul_lo_u32 v5, s26, v2
	v_mul_hi_u32 v5, v2, v5
	v_add_u32_e32 v2, v2, v5
	v_mul_hi_u32 v2, v3, v2
	v_mul_lo_u32 v5, v2, s24
	v_add_u32_e32 v6, 1, v2
	v_sub_u32_e32 v5, v3, v5
	v_subrev_u32_e32 v7, s24, v5
	v_cmp_le_u32_e32 vcc, s24, v5
	v_cndmask_b32_e32 v5, v5, v7, vcc
	v_cndmask_b32_e32 v2, v2, v6, vcc
	v_add_u32_e32 v6, 1, v2
	v_cmp_le_u32_e32 vcc, s24, v5
	v_cndmask_b32_e32 v28, v2, v6, vcc
.LBB0_6:                                ;   in Loop: Header=BB0_2 Depth=1
	s_or_b64 exec, exec, s[0:1]
	v_mul_lo_u32 v2, v29, s24
	v_mul_lo_u32 v7, v28, s25
	v_mad_u64_u32 v[5:6], s[0:1], v28, s24, 0
	s_load_dwordx2 s[0:1], s[6:7], 0x0
	s_load_dwordx2 s[24:25], s[2:3], 0x0
	v_add3_u32 v2, v6, v7, v2
	v_sub_co_u32_e32 v3, vcc, v3, v5
	v_subb_co_u32_e32 v2, vcc, v4, v2, vcc
	s_waitcnt lgkmcnt(0)
	v_mul_lo_u32 v4, s0, v2
	v_mul_lo_u32 v5, s1, v3
	v_mad_u64_u32 v[22:23], s[0:1], s0, v3, v[22:23]
	v_mul_lo_u32 v2, s24, v2
	v_mul_lo_u32 v6, s25, v3
	v_mad_u64_u32 v[26:27], s[0:1], s24, v3, v[26:27]
	s_add_u32 s22, s22, 1
	s_addc_u32 s23, s23, 0
	s_add_u32 s2, s2, 8
	v_add3_u32 v27, v6, v27, v2
	s_addc_u32 s3, s3, 0
	v_mov_b32_e32 v2, s14
	s_add_u32 s6, s6, 8
	v_mov_b32_e32 v3, s15
	s_addc_u32 s7, s7, 0
	v_cmp_ge_u64_e32 vcc, s[22:23], v[2:3]
	s_add_u32 s20, s20, 8
	v_add3_u32 v23, v5, v23, v4
	s_addc_u32 s21, s21, 0
	s_cbranch_vccnz .LBB0_9
; %bb.7:                                ;   in Loop: Header=BB0_2 Depth=1
	v_mov_b32_e32 v3, v28
	v_mov_b32_e32 v4, v29
	s_branch .LBB0_2
.LBB0_8:
	v_mov_b32_e32 v27, v23
	v_mov_b32_e32 v29, v4
	;; [unrolled: 1-line block ×4, first 2 shown]
.LBB0_9:
	s_lshl_b64 s[14:15], s[14:15], 3
	s_load_dwordx2 s[0:1], s[4:5], 0x28
	s_add_u32 s2, s18, s14
	s_mov_b32 s3, 0x1234568
	v_mul_hi_u32 v1, v0, s3
	s_addc_u32 s3, s19, s15
	s_load_dwordx2 s[2:3], s[2:3], 0x0
	s_waitcnt lgkmcnt(0)
	v_cmp_gt_u64_e64 s[0:1], s[0:1], v[28:29]
	v_mul_u32_u24_e32 v1, 0xe1, v1
	v_sub_u32_e32 v30, v0, v1
	v_mov_b32_e32 v31, 0
                                        ; implicit-def: $vgpr12_vgpr13
                                        ; implicit-def: $vgpr16_vgpr17
                                        ; implicit-def: $vgpr20_vgpr21
                                        ; implicit-def: $vgpr8_vgpr9
                                        ; implicit-def: $vgpr4_vgpr5
	s_and_saveexec_b64 s[4:5], s[0:1]
	s_cbranch_execz .LBB0_13
; %bb.10:
	s_movk_i32 s6, 0x87
	v_cmp_gt_u32_e32 vcc, s6, v30
                                        ; implicit-def: $vgpr2_vgpr3
                                        ; implicit-def: $vgpr6_vgpr7
                                        ; implicit-def: $vgpr18_vgpr19
                                        ; implicit-def: $vgpr14_vgpr15
                                        ; implicit-def: $vgpr10_vgpr11
	s_and_saveexec_b64 s[6:7], vcc
	s_cbranch_execz .LBB0_12
; %bb.11:
	s_add_u32 s14, s16, s14
	s_addc_u32 s15, s17, s15
	s_load_dwordx2 s[14:15], s[14:15], 0x0
	v_mov_b32_e32 v4, s9
	v_mov_b32_e32 v31, 0
	s_waitcnt lgkmcnt(0)
	v_mul_lo_u32 v2, s15, v28
	v_mul_lo_u32 v3, s14, v29
	v_mad_u64_u32 v[0:1], s[14:15], s14, v28, 0
	v_add3_u32 v1, v1, v3, v2
	v_lshlrev_b64 v[0:1], 4, v[0:1]
	v_add_co_u32_e32 v2, vcc, s8, v0
	v_addc_co_u32_e32 v3, vcc, v4, v1, vcc
	v_lshlrev_b64 v[0:1], 4, v[22:23]
	s_movk_i32 s8, 0x1000
	v_add_co_u32_e32 v2, vcc, v2, v0
	v_addc_co_u32_e32 v3, vcc, v3, v1, vcc
	v_lshlrev_b64 v[0:1], 4, v[30:31]
	v_add_co_u32_e32 v0, vcc, v2, v0
	v_addc_co_u32_e32 v1, vcc, v3, v1, vcc
	v_add_co_u32_e32 v22, vcc, s8, v0
	v_addc_co_u32_e32 v23, vcc, 0, v1, vcc
	global_load_dwordx4 v[2:5], v[0:1], off
	global_load_dwordx4 v[6:9], v[0:1], off offset:2160
	v_add_co_u32_e32 v0, vcc, 0x2000, v0
	v_addc_co_u32_e32 v1, vcc, 0, v1, vcc
	global_load_dwordx4 v[18:21], v[22:23], off offset:224
	global_load_dwordx4 v[14:17], v[22:23], off offset:2384
	global_load_dwordx4 v[10:13], v[0:1], off offset:448
.LBB0_12:
	s_or_b64 exec, exec, s[6:7]
	v_mov_b32_e32 v31, v30
.LBB0_13:
	s_or_b64 exec, exec, s[4:5]
	s_waitcnt vmcnt(0)
	v_add_f64 v[0:1], v[10:11], v[6:7]
	v_add_f64 v[32:33], v[14:15], v[18:19]
	v_add_f64 v[22:23], v[18:19], -v[6:7]
	v_add_f64 v[24:25], v[14:15], -v[10:11]
	;; [unrolled: 1-line block ×4, first 2 shown]
	v_add_f64 v[38:39], v[6:7], v[2:3]
	s_mov_b32 s4, 0x134454ff
	v_fma_f64 v[0:1], v[0:1], -0.5, v[2:3]
	v_fma_f64 v[2:3], v[32:33], -0.5, v[2:3]
	s_mov_b32 s5, 0xbfee6f0e
	s_mov_b32 s9, 0x3fee6f0e
	;; [unrolled: 1-line block ×3, first 2 shown]
	v_add_f64 v[24:25], v[24:25], v[22:23]
	v_add_f64 v[32:33], v[6:7], -v[18:19]
	v_add_f64 v[40:41], v[10:11], -v[14:15]
	v_fma_f64 v[22:23], v[34:35], s[8:9], v[0:1]
	v_fma_f64 v[0:1], v[34:35], s[4:5], v[0:1]
	v_add_f64 v[38:39], v[18:19], v[38:39]
	v_fma_f64 v[42:43], v[36:37], s[4:5], v[2:3]
	v_fma_f64 v[2:3], v[36:37], s[8:9], v[2:3]
	s_mov_b32 s6, 0x4755a5e
	s_mov_b32 s7, 0xbfe2cf23
	;; [unrolled: 1-line block ×4, first 2 shown]
	v_fma_f64 v[22:23], v[36:37], s[6:7], v[22:23]
	v_fma_f64 v[0:1], v[36:37], s[4:5], v[0:1]
	v_add_f64 v[32:33], v[40:41], v[32:33]
	v_add_f64 v[36:37], v[14:15], v[38:39]
	v_fma_f64 v[38:39], v[34:35], s[6:7], v[42:43]
	v_fma_f64 v[34:35], v[34:35], s[4:5], v[2:3]
	s_mov_b32 s4, 0x372fe950
	s_mov_b32 s5, 0x3fd3c6ef
	v_fma_f64 v[22:23], v[24:25], s[4:5], v[22:23]
	v_fma_f64 v[24:25], v[24:25], s[4:5], v[0:1]
	v_add_f64 v[0:1], v[10:11], v[36:37]
	v_fma_f64 v[2:3], v[32:33], s[4:5], v[38:39]
	v_fma_f64 v[32:33], v[32:33], s[4:5], v[34:35]
	s_movk_i32 s4, 0x87
	v_cmp_gt_u32_e32 vcc, s4, v30
	v_mad_u32_u24 v35, v30, 40, 0
	s_and_saveexec_b64 s[4:5], vcc
	s_cbranch_execz .LBB0_15
; %bb.14:
	ds_write2_b64 v35, v[0:1], v[2:3] offset1:1
	ds_write2_b64 v35, v[22:23], v[24:25] offset0:2 offset1:3
	ds_write_b64 v35, v[32:33] offset:32
.LBB0_15:
	s_or_b64 exec, exec, s[4:5]
	v_lshl_add_u32 v34, v30, 3, 0
	s_waitcnt lgkmcnt(0)
	s_barrier
	s_and_saveexec_b64 s[4:5], vcc
	s_cbranch_execz .LBB0_17
; %bb.16:
	v_add_u32_e32 v22, 0x800, v34
	ds_read2_b64 v[0:3], v34 offset1:135
	ds_read2_b64 v[22:25], v22 offset0:14 offset1:149
	ds_read_b64 v[32:33], v34 offset:4320
.LBB0_17:
	s_or_b64 exec, exec, s[4:5]
	v_add_f64 v[36:37], v[16:17], v[20:21]
	v_add_f64 v[6:7], v[6:7], -v[10:11]
	v_add_f64 v[10:11], v[12:13], v[8:9]
	v_add_f64 v[38:39], v[8:9], v[4:5]
	v_add_f64 v[14:15], v[18:19], -v[14:15]
	s_mov_b32 s4, 0x134454ff
	s_mov_b32 s5, 0x3fee6f0e
	;; [unrolled: 1-line block ×3, first 2 shown]
	v_fma_f64 v[18:19], v[36:37], -0.5, v[4:5]
	s_mov_b32 s8, s4
	v_fma_f64 v[4:5], v[10:11], -0.5, v[4:5]
	v_add_f64 v[36:37], v[8:9], -v[20:21]
	v_add_f64 v[40:41], v[12:13], -v[16:17]
	;; [unrolled: 1-line block ×3, first 2 shown]
	v_add_f64 v[10:11], v[20:21], v[38:39]
	v_add_f64 v[38:39], v[16:17], -v[12:13]
	v_fma_f64 v[20:21], v[6:7], s[4:5], v[18:19]
	v_fma_f64 v[18:19], v[6:7], s[8:9], v[18:19]
	;; [unrolled: 1-line block ×4, first 2 shown]
	s_mov_b32 s6, 0x4755a5e
	s_mov_b32 s7, 0x3fe2cf23
	;; [unrolled: 1-line block ×4, first 2 shown]
	v_add_f64 v[36:37], v[40:41], v[36:37]
	v_add_f64 v[10:11], v[16:17], v[10:11]
	v_fma_f64 v[16:17], v[14:15], s[6:7], v[20:21]
	v_fma_f64 v[14:15], v[14:15], s[4:5], v[18:19]
	v_fma_f64 v[20:21], v[6:7], s[6:7], v[42:43]
	v_add_f64 v[38:39], v[38:39], v[8:9]
	v_fma_f64 v[40:41], v[6:7], s[4:5], v[4:5]
	s_mov_b32 s4, 0x372fe950
	s_mov_b32 s5, 0x3fd3c6ef
	v_add_f64 v[4:5], v[12:13], v[10:11]
	v_fma_f64 v[6:7], v[36:37], s[4:5], v[16:17]
	v_fma_f64 v[18:19], v[36:37], s[4:5], v[14:15]
	s_waitcnt lgkmcnt(0)
	v_fma_f64 v[8:9], v[38:39], s[4:5], v[20:21]
	v_fma_f64 v[10:11], v[38:39], s[4:5], v[40:41]
	s_barrier
	s_and_saveexec_b64 s[4:5], vcc
	s_cbranch_execz .LBB0_19
; %bb.18:
	ds_write2_b64 v35, v[4:5], v[6:7] offset1:1
	ds_write2_b64 v35, v[8:9], v[10:11] offset0:2 offset1:3
	ds_write_b64 v35, v[18:19] offset:32
.LBB0_19:
	s_or_b64 exec, exec, s[4:5]
	s_waitcnt lgkmcnt(0)
	s_barrier
	s_and_saveexec_b64 s[4:5], vcc
	s_cbranch_execz .LBB0_21
; %bb.20:
	v_add_u32_e32 v8, 0x800, v34
	ds_read2_b64 v[4:7], v34 offset1:135
	ds_read2_b64 v[8:11], v8 offset0:14 offset1:149
	ds_read_b64 v[18:19], v34 offset:4320
.LBB0_21:
	s_or_b64 exec, exec, s[4:5]
	s_movk_i32 s4, 0xcd
	v_mul_lo_u16_sdwa v12, v30, s4 dst_sel:DWORD dst_unused:UNUSED_PAD src0_sel:BYTE_0 src1_sel:DWORD
	v_lshrrev_b16_e32 v35, 10, v12
	v_mul_lo_u16_e32 v12, 5, v35
	v_sub_u16_e32 v36, v30, v12
	v_mov_b32_e32 v12, 6
	v_lshlrev_b32_sdwa v16, v12, v36 dst_sel:DWORD dst_unused:UNUSED_PAD src0_sel:DWORD src1_sel:BYTE_0
	global_load_dwordx4 v[12:15], v16, s[12:13] offset:16
	global_load_dwordx4 v[37:40], v16, s[12:13] offset:32
	global_load_dwordx4 v[41:44], v16, s[12:13]
	global_load_dwordx4 v[45:48], v16, s[12:13] offset:48
	s_waitcnt vmcnt(0) lgkmcnt(0)
	s_barrier
	v_mul_f64 v[16:17], v[8:9], v[14:15]
	v_mul_f64 v[20:21], v[22:23], v[14:15]
	v_fma_f64 v[14:15], v[22:23], v[12:13], v[16:17]
	v_fma_f64 v[12:13], v[8:9], v[12:13], -v[20:21]
	v_mul_f64 v[8:9], v[10:11], v[39:40]
	v_mul_f64 v[20:21], v[24:25], v[39:40]
	v_mul_f64 v[22:23], v[6:7], v[43:44]
	v_mul_f64 v[39:40], v[32:33], v[47:48]
	v_fma_f64 v[16:17], v[24:25], v[37:38], v[8:9]
	v_mul_f64 v[24:25], v[2:3], v[43:44]
	v_fma_f64 v[8:9], v[10:11], v[37:38], -v[20:21]
	v_mul_f64 v[37:38], v[18:19], v[47:48]
	v_fma_f64 v[20:21], v[2:3], v[41:42], v[22:23]
	v_fma_f64 v[10:11], v[6:7], v[41:42], -v[24:25]
	v_fma_f64 v[6:7], v[18:19], v[45:46], -v[39:40]
	v_fma_f64 v[22:23], v[32:33], v[45:46], v[37:38]
	s_and_saveexec_b64 s[4:5], vcc
	s_cbranch_execz .LBB0_23
; %bb.22:
	v_add_f64 v[2:3], v[20:21], v[22:23]
	v_add_f64 v[18:19], v[14:15], v[16:17]
	v_add_f64 v[24:25], v[14:15], -v[20:21]
	v_add_f64 v[32:33], v[16:17], -v[22:23]
	v_add_f64 v[39:40], v[0:1], v[20:21]
	v_add_f64 v[41:42], v[20:21], -v[14:15]
	v_add_f64 v[43:44], v[22:23], -v[16:17]
	v_add_f64 v[45:46], v[10:11], -v[6:7]
	v_fma_f64 v[2:3], v[2:3], -0.5, v[0:1]
	v_fma_f64 v[0:1], v[18:19], -0.5, v[0:1]
	v_add_f64 v[37:38], v[12:13], -v[8:9]
	s_mov_b32 s6, 0x134454ff
	s_mov_b32 s7, 0xbfee6f0e
	s_mov_b32 s9, 0x3fee6f0e
	s_mov_b32 s8, s6
	v_add_f64 v[18:19], v[24:25], v[32:33]
	v_add_f64 v[32:33], v[41:42], v[43:44]
	v_fma_f64 v[41:42], v[45:46], s[6:7], v[0:1]
	v_add_f64 v[39:40], v[39:40], v[14:15]
	v_fma_f64 v[24:25], v[37:38], s[6:7], v[2:3]
	v_fma_f64 v[2:3], v[37:38], s[8:9], v[2:3]
	;; [unrolled: 1-line block ×3, first 2 shown]
	s_mov_b32 s6, 0x4755a5e
	s_mov_b32 s7, 0x3fe2cf23
	;; [unrolled: 1-line block ×4, first 2 shown]
	v_fma_f64 v[41:42], v[37:38], s[8:9], v[41:42]
	v_add_f64 v[39:40], v[39:40], v[16:17]
	v_fma_f64 v[24:25], v[45:46], s[6:7], v[24:25]
	v_fma_f64 v[2:3], v[45:46], s[8:9], v[2:3]
	;; [unrolled: 1-line block ×3, first 2 shown]
	s_mov_b32 s6, 0x372fe950
	s_mov_b32 s7, 0x3fd3c6ef
	v_fma_f64 v[37:38], v[32:33], s[6:7], v[41:42]
	v_add_f64 v[39:40], v[39:40], v[22:23]
	v_fma_f64 v[24:25], v[18:19], s[6:7], v[24:25]
	v_fma_f64 v[2:3], v[18:19], s[6:7], v[2:3]
	;; [unrolled: 1-line block ×3, first 2 shown]
	v_mov_b32_e32 v19, 3
	v_mul_u32_u24_e32 v18, 0xc8, v35
	v_lshlrev_b32_sdwa v19, v19, v36 dst_sel:DWORD dst_unused:UNUSED_PAD src0_sel:DWORD src1_sel:BYTE_0
	v_add3_u32 v18, 0, v18, v19
	ds_write2_b64 v18, v[39:40], v[37:38] offset1:5
	ds_write2_b64 v18, v[2:3], v[24:25] offset0:10 offset1:15
	ds_write_b64 v18, v[0:1] offset:160
.LBB0_23:
	s_or_b64 exec, exec, s[4:5]
	s_waitcnt lgkmcnt(0)
	s_barrier
	ds_read2_b64 v[0:3], v34 offset1:225
	ds_read_b64 v[18:19], v34 offset:3600
	s_waitcnt lgkmcnt(0)
	s_barrier
	s_and_saveexec_b64 s[4:5], vcc
	s_cbranch_execz .LBB0_25
; %bb.24:
	v_add_f64 v[24:25], v[12:13], v[8:9]
	v_add_f64 v[20:21], v[20:21], -v[22:23]
	v_add_f64 v[22:23], v[10:11], v[6:7]
	v_add_f64 v[32:33], v[4:5], v[10:11]
	v_add_f64 v[14:15], v[14:15], -v[16:17]
	s_mov_b32 s6, 0x134454ff
	s_mov_b32 s7, 0x3fee6f0e
	;; [unrolled: 1-line block ×3, first 2 shown]
	v_fma_f64 v[16:17], v[24:25], -0.5, v[4:5]
	v_add_f64 v[24:25], v[10:11], -v[12:13]
	v_fma_f64 v[4:5], v[22:23], -0.5, v[4:5]
	v_add_f64 v[22:23], v[6:7], -v[8:9]
	v_add_f64 v[10:11], v[12:13], -v[10:11]
	v_add_f64 v[12:13], v[32:33], v[12:13]
	s_mov_b32 s14, s6
	v_add_f64 v[37:38], v[8:9], -v[6:7]
	v_fma_f64 v[32:33], v[20:21], s[6:7], v[16:17]
	v_fma_f64 v[16:17], v[20:21], s[14:15], v[16:17]
	;; [unrolled: 1-line block ×4, first 2 shown]
	s_mov_b32 s8, 0x4755a5e
	s_mov_b32 s9, 0x3fe2cf23
	v_add_f64 v[22:23], v[24:25], v[22:23]
	v_add_f64 v[8:9], v[12:13], v[8:9]
	v_fma_f64 v[12:13], v[14:15], s[8:9], v[32:33]
	s_mov_b32 s7, 0xbfe2cf23
	s_mov_b32 s6, s8
	v_fma_f64 v[24:25], v[20:21], s[8:9], v[39:40]
	v_add_f64 v[10:11], v[10:11], v[37:38]
	v_fma_f64 v[4:5], v[20:21], s[6:7], v[4:5]
	v_fma_f64 v[14:15], v[14:15], s[6:7], v[16:17]
	s_mov_b32 s6, 0x372fe950
	s_mov_b32 s7, 0x3fd3c6ef
	v_add_f64 v[6:7], v[8:9], v[6:7]
	v_fma_f64 v[8:9], v[22:23], s[6:7], v[12:13]
	v_fma_f64 v[12:13], v[10:11], s[6:7], v[24:25]
	;; [unrolled: 1-line block ×4, first 2 shown]
	v_mov_b32_e32 v15, 3
	v_mul_u32_u24_e32 v14, 0xc8, v35
	v_lshlrev_b32_sdwa v15, v15, v36 dst_sel:DWORD dst_unused:UNUSED_PAD src0_sel:DWORD src1_sel:BYTE_0
	v_add3_u32 v14, 0, v14, v15
	ds_write2_b64 v14, v[6:7], v[8:9] offset1:5
	ds_write2_b64 v14, v[12:13], v[4:5] offset0:10 offset1:15
	ds_write_b64 v14, v[10:11] offset:160
.LBB0_25:
	s_or_b64 exec, exec, s[4:5]
	v_mov_b32_e32 v4, 41
	v_mul_lo_u16_sdwa v4, v30, v4 dst_sel:DWORD dst_unused:UNUSED_PAD src0_sel:BYTE_0 src1_sel:DWORD
	v_lshrrev_b16_e32 v24, 10, v4
	v_mul_lo_u16_e32 v4, 25, v24
	v_sub_u16_e32 v25, v30, v4
	v_mov_b32_e32 v32, 5
	v_lshlrev_b32_sdwa v12, v32, v25 dst_sel:DWORD dst_unused:UNUSED_PAD src0_sel:DWORD src1_sel:BYTE_0
	s_waitcnt lgkmcnt(0)
	s_barrier
	global_load_dwordx4 v[4:7], v12, s[12:13] offset:320
	global_load_dwordx4 v[8:11], v12, s[12:13] offset:336
	ds_read2_b64 v[12:15], v34 offset1:225
	ds_read_b64 v[16:17], v34 offset:3600
	s_movk_i32 s8, 0xdb
	s_mov_b32 s4, 0xe8584caa
	s_mov_b32 s5, 0xbfebb67a
	;; [unrolled: 1-line block ×4, first 2 shown]
	v_mov_b32_e32 v33, 3
	s_waitcnt vmcnt(0) lgkmcnt(0)
	s_barrier
	v_mul_f64 v[20:21], v[14:15], v[6:7]
	v_mul_f64 v[22:23], v[16:17], v[10:11]
	;; [unrolled: 1-line block ×4, first 2 shown]
	v_fma_f64 v[2:3], v[2:3], v[4:5], v[20:21]
	v_fma_f64 v[18:19], v[18:19], v[8:9], v[22:23]
	v_fma_f64 v[4:5], v[14:15], v[4:5], -v[6:7]
	v_fma_f64 v[6:7], v[16:17], v[8:9], -v[10:11]
	v_mul_lo_u16_sdwa v10, v30, s8 dst_sel:DWORD dst_unused:UNUSED_PAD src0_sel:BYTE_0 src1_sel:DWORD
	v_lshrrev_b16_e32 v35, 14, v10
	v_mul_lo_u16_e32 v10, 0x4b, v35
	v_mul_u32_u24_e32 v20, 0x258, v24
	v_sub_u16_e32 v24, v30, v10
	v_add_f64 v[8:9], v[2:3], v[18:19]
	v_add_f64 v[10:11], v[0:1], v[2:3]
	;; [unrolled: 1-line block ×3, first 2 shown]
	v_add_f64 v[16:17], v[4:5], -v[6:7]
	v_add_f64 v[4:5], v[12:13], v[4:5]
	v_add_f64 v[2:3], v[2:3], -v[18:19]
	v_lshlrev_b32_sdwa v21, v33, v25 dst_sel:DWORD dst_unused:UNUSED_PAD src0_sel:DWORD src1_sel:BYTE_0
	v_lshlrev_b32_sdwa v22, v32, v24 dst_sel:DWORD dst_unused:UNUSED_PAD src0_sel:DWORD src1_sel:BYTE_0
	v_fma_f64 v[0:1], v[8:9], -0.5, v[0:1]
	v_add_f64 v[10:11], v[10:11], v[18:19]
	v_fma_f64 v[8:9], v[14:15], -0.5, v[12:13]
	v_add3_u32 v14, 0, v20, v21
	v_add_f64 v[4:5], v[4:5], v[6:7]
	v_fma_f64 v[12:13], v[16:17], s[4:5], v[0:1]
	v_fma_f64 v[0:1], v[16:17], s[6:7], v[0:1]
	;; [unrolled: 1-line block ×4, first 2 shown]
	ds_write2_b64 v14, v[10:11], v[12:13] offset1:25
	ds_write_b64 v14, v[0:1] offset:400
	s_waitcnt lgkmcnt(0)
	s_barrier
	ds_read2_b64 v[0:3], v34 offset1:225
	ds_read_b64 v[16:17], v34 offset:3600
	s_waitcnt lgkmcnt(0)
	s_barrier
	ds_write2_b64 v14, v[4:5], v[6:7] offset1:25
	ds_write_b64 v14, v[8:9] offset:400
	s_waitcnt lgkmcnt(0)
	s_barrier
	global_load_dwordx4 v[4:7], v22, s[12:13] offset:1120
	global_load_dwordx4 v[8:11], v22, s[12:13] offset:1136
	ds_read2_b64 v[12:15], v34 offset1:225
	ds_read_b64 v[18:19], v34 offset:3600
	s_waitcnt vmcnt(0) lgkmcnt(0)
	s_barrier
	v_mul_f64 v[20:21], v[14:15], v[6:7]
	v_mul_f64 v[22:23], v[18:19], v[10:11]
	;; [unrolled: 1-line block ×4, first 2 shown]
	v_fma_f64 v[2:3], v[2:3], v[4:5], v[20:21]
	v_fma_f64 v[16:17], v[16:17], v[8:9], v[22:23]
	v_fma_f64 v[4:5], v[14:15], v[4:5], -v[6:7]
	v_fma_f64 v[6:7], v[18:19], v[8:9], -v[10:11]
	v_add_f64 v[10:11], v[0:1], v[2:3]
	v_add_f64 v[8:9], v[2:3], v[16:17]
	v_add_f64 v[2:3], v[2:3], -v[16:17]
	v_add_f64 v[14:15], v[4:5], v[6:7]
	v_add_f64 v[18:19], v[4:5], -v[6:7]
	v_add_f64 v[4:5], v[12:13], v[4:5]
	v_add_f64 v[10:11], v[10:11], v[16:17]
	v_fma_f64 v[0:1], v[8:9], -0.5, v[0:1]
	v_mul_u32_u24_e32 v8, 0x708, v35
	v_lshlrev_b32_sdwa v9, v33, v24 dst_sel:DWORD dst_unused:UNUSED_PAD src0_sel:DWORD src1_sel:BYTE_0
	v_add3_u32 v20, 0, v8, v9
	v_fma_f64 v[8:9], v[14:15], -0.5, v[12:13]
	v_add_f64 v[6:7], v[4:5], v[6:7]
	v_fma_f64 v[12:13], v[18:19], s[4:5], v[0:1]
	v_fma_f64 v[0:1], v[18:19], s[6:7], v[0:1]
	ds_write2_b64 v20, v[10:11], v[12:13] offset1:75
	ds_write_b64 v20, v[0:1] offset:1200
	v_fma_f64 v[14:15], v[2:3], s[6:7], v[8:9]
	v_fma_f64 v[8:9], v[2:3], s[4:5], v[8:9]
	s_waitcnt lgkmcnt(0)
	s_barrier
	ds_read2_b64 v[0:3], v34 offset1:225
	ds_read_b64 v[4:5], v34 offset:3600
	s_waitcnt lgkmcnt(0)
	s_barrier
	ds_write2_b64 v20, v[6:7], v[14:15] offset1:75
	ds_write_b64 v20, v[8:9] offset:1200
	s_waitcnt lgkmcnt(0)
	s_barrier
	s_and_saveexec_b64 s[8:9], s[0:1]
	s_cbranch_execz .LBB0_27
; %bb.26:
	v_lshlrev_b32_e32 v17, 1, v30
	v_mov_b32_e32 v18, 0
	v_lshlrev_b64 v[6:7], 4, v[17:18]
	v_mov_b32_e32 v8, s13
	v_add_co_u32_e32 v14, vcc, s12, v6
	v_addc_co_u32_e32 v15, vcc, v8, v7, vcc
	global_load_dwordx4 v[6:9], v[14:15], off offset:3520
	global_load_dwordx4 v[10:13], v[14:15], off offset:3536
	ds_read2_b64 v[14:17], v34 offset1:225
	ds_read_b64 v[19:20], v34 offset:3600
	v_mul_lo_u32 v33, s3, v28
	v_mul_lo_u32 v35, s2, v29
	v_mad_u64_u32 v[21:22], s[0:1], s2, v28, 0
	v_mov_b32_e32 v32, v18
	v_mov_b32_e32 v34, s11
	v_add3_u32 v22, v22, v35, v33
	v_lshlrev_b64 v[25:26], 4, v[26:27]
	v_lshlrev_b64 v[30:31], 4, v[31:32]
	s_waitcnt vmcnt(1)
	v_mul_f64 v[23:24], v[2:3], v[8:9]
	s_waitcnt vmcnt(0)
	v_mul_f64 v[28:29], v[4:5], v[12:13]
	s_waitcnt lgkmcnt(1)
	v_mul_f64 v[8:9], v[16:17], v[8:9]
	s_waitcnt lgkmcnt(0)
	v_mul_f64 v[12:13], v[19:20], v[12:13]
	v_fma_f64 v[16:17], v[16:17], v[6:7], -v[23:24]
	v_fma_f64 v[18:19], v[19:20], v[10:11], -v[28:29]
	v_fma_f64 v[2:3], v[2:3], v[6:7], v[8:9]
	v_fma_f64 v[4:5], v[4:5], v[10:11], v[12:13]
	v_lshlrev_b64 v[6:7], 4, v[21:22]
	v_add_co_u32_e32 v10, vcc, s10, v6
	v_addc_co_u32_e32 v11, vcc, v34, v7, vcc
	v_add_f64 v[6:7], v[16:17], v[18:19]
	v_add_f64 v[8:9], v[2:3], v[4:5]
	v_add_co_u32_e32 v24, vcc, v10, v25
	v_add_f64 v[12:13], v[14:15], v[16:17]
	v_add_f64 v[20:21], v[0:1], v[2:3]
	v_addc_co_u32_e32 v25, vcc, v11, v26, vcc
	v_add_f64 v[10:11], v[2:3], -v[4:5]
	v_add_f64 v[16:17], v[16:17], -v[18:19]
	v_fma_f64 v[14:15], v[6:7], -0.5, v[14:15]
	v_fma_f64 v[22:23], v[8:9], -0.5, v[0:1]
	v_add_f64 v[2:3], v[12:13], v[18:19]
	v_add_f64 v[0:1], v[20:21], v[4:5]
	v_add_co_u32_e32 v24, vcc, v24, v30
	v_addc_co_u32_e32 v25, vcc, v25, v31, vcc
	v_fma_f64 v[6:7], v[10:11], s[4:5], v[14:15]
	v_fma_f64 v[10:11], v[10:11], s[6:7], v[14:15]
	;; [unrolled: 1-line block ×4, first 2 shown]
	v_add_co_u32_e32 v12, vcc, 0x1000, v24
	v_addc_co_u32_e32 v13, vcc, 0, v25, vcc
	global_store_dwordx4 v[24:25], v[0:3], off
	global_store_dwordx4 v[24:25], v[8:11], off offset:3600
	global_store_dwordx4 v[12:13], v[4:7], off offset:3104
.LBB0_27:
	s_endpgm
	.section	.rodata,"a",@progbits
	.p2align	6, 0x0
	.amdhsa_kernel fft_rtc_back_len675_factors_5_5_3_3_3_wgs_225_tpt_225_halfLds_dp_op_CI_CI_unitstride_sbrr_dirReg
		.amdhsa_group_segment_fixed_size 0
		.amdhsa_private_segment_fixed_size 0
		.amdhsa_kernarg_size 104
		.amdhsa_user_sgpr_count 6
		.amdhsa_user_sgpr_private_segment_buffer 1
		.amdhsa_user_sgpr_dispatch_ptr 0
		.amdhsa_user_sgpr_queue_ptr 0
		.amdhsa_user_sgpr_kernarg_segment_ptr 1
		.amdhsa_user_sgpr_dispatch_id 0
		.amdhsa_user_sgpr_flat_scratch_init 0
		.amdhsa_user_sgpr_private_segment_size 0
		.amdhsa_uses_dynamic_stack 0
		.amdhsa_system_sgpr_private_segment_wavefront_offset 0
		.amdhsa_system_sgpr_workgroup_id_x 1
		.amdhsa_system_sgpr_workgroup_id_y 0
		.amdhsa_system_sgpr_workgroup_id_z 0
		.amdhsa_system_sgpr_workgroup_info 0
		.amdhsa_system_vgpr_workitem_id 0
		.amdhsa_next_free_vgpr 49
		.amdhsa_next_free_sgpr 28
		.amdhsa_reserve_vcc 1
		.amdhsa_reserve_flat_scratch 0
		.amdhsa_float_round_mode_32 0
		.amdhsa_float_round_mode_16_64 0
		.amdhsa_float_denorm_mode_32 3
		.amdhsa_float_denorm_mode_16_64 3
		.amdhsa_dx10_clamp 1
		.amdhsa_ieee_mode 1
		.amdhsa_fp16_overflow 0
		.amdhsa_exception_fp_ieee_invalid_op 0
		.amdhsa_exception_fp_denorm_src 0
		.amdhsa_exception_fp_ieee_div_zero 0
		.amdhsa_exception_fp_ieee_overflow 0
		.amdhsa_exception_fp_ieee_underflow 0
		.amdhsa_exception_fp_ieee_inexact 0
		.amdhsa_exception_int_div_zero 0
	.end_amdhsa_kernel
	.text
.Lfunc_end0:
	.size	fft_rtc_back_len675_factors_5_5_3_3_3_wgs_225_tpt_225_halfLds_dp_op_CI_CI_unitstride_sbrr_dirReg, .Lfunc_end0-fft_rtc_back_len675_factors_5_5_3_3_3_wgs_225_tpt_225_halfLds_dp_op_CI_CI_unitstride_sbrr_dirReg
                                        ; -- End function
	.section	.AMDGPU.csdata,"",@progbits
; Kernel info:
; codeLenInByte = 4248
; NumSgprs: 32
; NumVgprs: 49
; ScratchSize: 0
; MemoryBound: 1
; FloatMode: 240
; IeeeMode: 1
; LDSByteSize: 0 bytes/workgroup (compile time only)
; SGPRBlocks: 3
; VGPRBlocks: 12
; NumSGPRsForWavesPerEU: 32
; NumVGPRsForWavesPerEU: 49
; Occupancy: 4
; WaveLimiterHint : 1
; COMPUTE_PGM_RSRC2:SCRATCH_EN: 0
; COMPUTE_PGM_RSRC2:USER_SGPR: 6
; COMPUTE_PGM_RSRC2:TRAP_HANDLER: 0
; COMPUTE_PGM_RSRC2:TGID_X_EN: 1
; COMPUTE_PGM_RSRC2:TGID_Y_EN: 0
; COMPUTE_PGM_RSRC2:TGID_Z_EN: 0
; COMPUTE_PGM_RSRC2:TIDIG_COMP_CNT: 0
	.type	__hip_cuid_bb2ef8c0d8b00941,@object ; @__hip_cuid_bb2ef8c0d8b00941
	.section	.bss,"aw",@nobits
	.globl	__hip_cuid_bb2ef8c0d8b00941
__hip_cuid_bb2ef8c0d8b00941:
	.byte	0                               ; 0x0
	.size	__hip_cuid_bb2ef8c0d8b00941, 1

	.ident	"AMD clang version 19.0.0git (https://github.com/RadeonOpenCompute/llvm-project roc-6.4.0 25133 c7fe45cf4b819c5991fe208aaa96edf142730f1d)"
	.section	".note.GNU-stack","",@progbits
	.addrsig
	.addrsig_sym __hip_cuid_bb2ef8c0d8b00941
	.amdgpu_metadata
---
amdhsa.kernels:
  - .args:
      - .actual_access:  read_only
        .address_space:  global
        .offset:         0
        .size:           8
        .value_kind:     global_buffer
      - .offset:         8
        .size:           8
        .value_kind:     by_value
      - .actual_access:  read_only
        .address_space:  global
        .offset:         16
        .size:           8
        .value_kind:     global_buffer
      - .actual_access:  read_only
        .address_space:  global
        .offset:         24
        .size:           8
        .value_kind:     global_buffer
      - .actual_access:  read_only
        .address_space:  global
        .offset:         32
        .size:           8
        .value_kind:     global_buffer
      - .offset:         40
        .size:           8
        .value_kind:     by_value
      - .actual_access:  read_only
        .address_space:  global
        .offset:         48
        .size:           8
        .value_kind:     global_buffer
      - .actual_access:  read_only
        .address_space:  global
        .offset:         56
        .size:           8
        .value_kind:     global_buffer
      - .offset:         64
        .size:           4
        .value_kind:     by_value
      - .actual_access:  read_only
        .address_space:  global
        .offset:         72
        .size:           8
        .value_kind:     global_buffer
      - .actual_access:  read_only
        .address_space:  global
        .offset:         80
        .size:           8
        .value_kind:     global_buffer
      - .actual_access:  read_only
        .address_space:  global
        .offset:         88
        .size:           8
        .value_kind:     global_buffer
      - .actual_access:  write_only
        .address_space:  global
        .offset:         96
        .size:           8
        .value_kind:     global_buffer
    .group_segment_fixed_size: 0
    .kernarg_segment_align: 8
    .kernarg_segment_size: 104
    .language:       OpenCL C
    .language_version:
      - 2
      - 0
    .max_flat_workgroup_size: 225
    .name:           fft_rtc_back_len675_factors_5_5_3_3_3_wgs_225_tpt_225_halfLds_dp_op_CI_CI_unitstride_sbrr_dirReg
    .private_segment_fixed_size: 0
    .sgpr_count:     32
    .sgpr_spill_count: 0
    .symbol:         fft_rtc_back_len675_factors_5_5_3_3_3_wgs_225_tpt_225_halfLds_dp_op_CI_CI_unitstride_sbrr_dirReg.kd
    .uniform_work_group_size: 1
    .uses_dynamic_stack: false
    .vgpr_count:     49
    .vgpr_spill_count: 0
    .wavefront_size: 64
amdhsa.target:   amdgcn-amd-amdhsa--gfx906
amdhsa.version:
  - 1
  - 2
...

	.end_amdgpu_metadata
